;; amdgpu-corpus repo=llvm/llvm-project kind=harvested arch=n/a opt=n/a
// NOTE: Assertions have been autogenerated by utils/update_mc_test_checks.py UTC_ARGS: --unique --sort --version 5
// RUN: not llvm-mc -triple=amdgcn -mcpu=gfx1100 -mattr=-real-true16,+wavefrontsize32 -filetype=null %s 2>&1 | FileCheck --check-prefix=GFX11 --implicit-check-not=error: %s
// RUN: not llvm-mc -triple=amdgcn -mcpu=gfx1100 -mattr=-real-true16,+wavefrontsize64 -filetype=null %s 2>&1 | FileCheck --check-prefix=GFX11 --implicit-check-not=error: %s

v_ceil_f16_e32 v128, 0xfe0b
// GFX11: :[[@LINE-1]]:1: error: operands are not valid for this GPU or mode

v_ceil_f16_e32 v255, v1
// GFX11: :[[@LINE-1]]:1: error: operands are not valid for this GPU or mode

v_ceil_f16_e32 v255, v1 dpp8:[7,6,5,4,3,2,1,0]
// GFX11: :[[@LINE-1]]:25: error: invalid operand for instruction

v_ceil_f16_e32 v255, v1 quad_perm:[3,2,1,0]
// GFX11: :[[@LINE-1]]:25: error: invalid operand for instruction

v_ceil_f16_e32 v5, v199
// GFX11: :[[@LINE-1]]:1: error: operands are not valid for this GPU or mode

v_ceil_f16_e32 v5, v199 dpp8:[7,6,5,4,3,2,1,0]
// GFX11: :[[@LINE-1]]:25: error: invalid operand for instruction

v_ceil_f16_e32 v5, v199 quad_perm:[3,2,1,0]
// GFX11: :[[@LINE-1]]:25: error: invalid operand for instruction

v_exp_f16_e32 v128, 0xfe0b
// GFX11: :[[@LINE-1]]:1: error: operands are not valid for this GPU or mode

v_exp_f16_e32 v255, v1
// GFX11: :[[@LINE-1]]:1: error: operands are not valid for this GPU or mode
	;; [unrolled: 3-line block ×3, first 2 shown]

v_floor_f16_e32 v128, 0xfe0b
// GFX11: :[[@LINE-1]]:1: error: operands are not valid for this GPU or mode

v_floor_f16_e32 v255, v1
// GFX11: :[[@LINE-1]]:1: error: operands are not valid for this GPU or mode

v_floor_f16_e32 v255, v1 dpp8:[7,6,5,4,3,2,1,0]
// GFX11: :[[@LINE-1]]:26: error: invalid operand for instruction

v_floor_f16_e32 v255, v1 quad_perm:[3,2,1,0]
// GFX11: :[[@LINE-1]]:26: error: invalid operand for instruction

v_floor_f16_e32 v5, v199
// GFX11: :[[@LINE-1]]:1: error: operands are not valid for this GPU or mode

v_floor_f16_e32 v5, v199 dpp8:[7,6,5,4,3,2,1,0]
// GFX11: :[[@LINE-1]]:26: error: invalid operand for instruction

v_floor_f16_e32 v5, v199 quad_perm:[3,2,1,0]
// GFX11: :[[@LINE-1]]:26: error: invalid operand for instruction

v_log_f16_e32 v128, 0xfe0b
// GFX11: :[[@LINE-1]]:1: error: operands are not valid for this GPU or mode

v_log_f16_e32 v255, v1
// GFX11: :[[@LINE-1]]:1: error: operands are not valid for this GPU or mode
	;; [unrolled: 3-line block ×3, first 2 shown]

v_rcp_f16_e32 v128, 0xfe0b
// GFX11: :[[@LINE-1]]:1: error: operands are not valid for this GPU or mode

v_rcp_f16_e32 v255, v1
// GFX11: :[[@LINE-1]]:1: error: operands are not valid for this GPU or mode
	;; [unrolled: 3-line block ×3, first 2 shown]

v_rsq_f16_e32 v128, 0xfe0b
// GFX11: :[[@LINE-1]]:1: error: operands are not valid for this GPU or mode

v_rsq_f16_e32 v255, v1
// GFX11: :[[@LINE-1]]:1: error: operands are not valid for this GPU or mode
	;; [unrolled: 3-line block ×3, first 2 shown]

v_sqrt_f16_e32 v128, 0xfe0b
// GFX11: :[[@LINE-1]]:1: error: operands are not valid for this GPU or mode

v_sqrt_f16_e32 v255, v1
// GFX11: :[[@LINE-1]]:1: error: operands are not valid for this GPU or mode
	;; [unrolled: 3-line block ×3, first 2 shown]
